;; amdgpu-corpus repo=ROCm/rocFFT kind=compiled arch=gfx906 opt=O3
	.text
	.amdgcn_target "amdgcn-amd-amdhsa--gfx906"
	.amdhsa_code_object_version 6
	.protected	fft_rtc_fwd_len980_factors_7_5_7_4_wgs_196_tpt_196_sp_op_CI_CI_unitstride_sbrr_R2C_dirReg ; -- Begin function fft_rtc_fwd_len980_factors_7_5_7_4_wgs_196_tpt_196_sp_op_CI_CI_unitstride_sbrr_R2C_dirReg
	.globl	fft_rtc_fwd_len980_factors_7_5_7_4_wgs_196_tpt_196_sp_op_CI_CI_unitstride_sbrr_R2C_dirReg
	.p2align	8
	.type	fft_rtc_fwd_len980_factors_7_5_7_4_wgs_196_tpt_196_sp_op_CI_CI_unitstride_sbrr_R2C_dirReg,@function
fft_rtc_fwd_len980_factors_7_5_7_4_wgs_196_tpt_196_sp_op_CI_CI_unitstride_sbrr_R2C_dirReg: ; @fft_rtc_fwd_len980_factors_7_5_7_4_wgs_196_tpt_196_sp_op_CI_CI_unitstride_sbrr_R2C_dirReg
; %bb.0:
	s_load_dwordx4 s[8:11], s[4:5], 0x58
	s_load_dwordx4 s[12:15], s[4:5], 0x0
	;; [unrolled: 1-line block ×3, first 2 shown]
	v_mul_u32_u24_e32 v1, 0x14f, v0
	v_add_u32_sdwa v5, s6, v1 dst_sel:DWORD dst_unused:UNUSED_PAD src0_sel:DWORD src1_sel:WORD_1
	v_mov_b32_e32 v3, 0
	s_waitcnt lgkmcnt(0)
	v_cmp_lt_u64_e64 s[0:1], s[14:15], 2
	v_mov_b32_e32 v1, 0
	v_mov_b32_e32 v6, v3
	s_and_b64 vcc, exec, s[0:1]
	v_mov_b32_e32 v2, 0
	s_cbranch_vccnz .LBB0_8
; %bb.1:
	s_load_dwordx2 s[0:1], s[4:5], 0x10
	s_add_u32 s2, s18, 8
	s_addc_u32 s3, s19, 0
	s_add_u32 s6, s16, 8
	v_mov_b32_e32 v1, 0
	s_addc_u32 s7, s17, 0
	v_mov_b32_e32 v2, 0
	s_waitcnt lgkmcnt(0)
	s_add_u32 s20, s0, 8
	v_mov_b32_e32 v17, v2
	s_addc_u32 s21, s1, 0
	s_mov_b64 s[22:23], 1
	v_mov_b32_e32 v16, v1
.LBB0_2:                                ; =>This Inner Loop Header: Depth=1
	s_load_dwordx2 s[24:25], s[20:21], 0x0
                                        ; implicit-def: $vgpr18_vgpr19
	s_waitcnt lgkmcnt(0)
	v_or_b32_e32 v4, s25, v6
	v_cmp_ne_u64_e32 vcc, 0, v[3:4]
	s_and_saveexec_b64 s[0:1], vcc
	s_xor_b64 s[26:27], exec, s[0:1]
	s_cbranch_execz .LBB0_4
; %bb.3:                                ;   in Loop: Header=BB0_2 Depth=1
	v_cvt_f32_u32_e32 v4, s24
	v_cvt_f32_u32_e32 v7, s25
	s_sub_u32 s0, 0, s24
	s_subb_u32 s1, 0, s25
	v_mac_f32_e32 v4, 0x4f800000, v7
	v_rcp_f32_e32 v4, v4
	v_mul_f32_e32 v4, 0x5f7ffffc, v4
	v_mul_f32_e32 v7, 0x2f800000, v4
	v_trunc_f32_e32 v7, v7
	v_mac_f32_e32 v4, 0xcf800000, v7
	v_cvt_u32_f32_e32 v7, v7
	v_cvt_u32_f32_e32 v4, v4
	v_mul_lo_u32 v8, s0, v7
	v_mul_hi_u32 v9, s0, v4
	v_mul_lo_u32 v11, s1, v4
	v_mul_lo_u32 v10, s0, v4
	v_add_u32_e32 v8, v9, v8
	v_add_u32_e32 v8, v8, v11
	v_mul_hi_u32 v9, v4, v10
	v_mul_lo_u32 v11, v4, v8
	v_mul_hi_u32 v13, v4, v8
	v_mul_hi_u32 v12, v7, v10
	v_mul_lo_u32 v10, v7, v10
	v_mul_hi_u32 v14, v7, v8
	v_add_co_u32_e32 v9, vcc, v9, v11
	v_addc_co_u32_e32 v11, vcc, 0, v13, vcc
	v_mul_lo_u32 v8, v7, v8
	v_add_co_u32_e32 v9, vcc, v9, v10
	v_addc_co_u32_e32 v9, vcc, v11, v12, vcc
	v_addc_co_u32_e32 v10, vcc, 0, v14, vcc
	v_add_co_u32_e32 v8, vcc, v9, v8
	v_addc_co_u32_e32 v9, vcc, 0, v10, vcc
	v_add_co_u32_e32 v4, vcc, v4, v8
	v_addc_co_u32_e32 v7, vcc, v7, v9, vcc
	v_mul_lo_u32 v8, s0, v7
	v_mul_hi_u32 v9, s0, v4
	v_mul_lo_u32 v10, s1, v4
	v_mul_lo_u32 v11, s0, v4
	v_add_u32_e32 v8, v9, v8
	v_add_u32_e32 v8, v8, v10
	v_mul_lo_u32 v12, v4, v8
	v_mul_hi_u32 v13, v4, v11
	v_mul_hi_u32 v14, v4, v8
	v_mul_hi_u32 v10, v7, v11
	v_mul_lo_u32 v11, v7, v11
	v_mul_hi_u32 v9, v7, v8
	v_add_co_u32_e32 v12, vcc, v13, v12
	v_addc_co_u32_e32 v13, vcc, 0, v14, vcc
	v_mul_lo_u32 v8, v7, v8
	v_add_co_u32_e32 v11, vcc, v12, v11
	v_addc_co_u32_e32 v10, vcc, v13, v10, vcc
	v_addc_co_u32_e32 v9, vcc, 0, v9, vcc
	v_add_co_u32_e32 v8, vcc, v10, v8
	v_addc_co_u32_e32 v9, vcc, 0, v9, vcc
	v_add_co_u32_e32 v4, vcc, v4, v8
	v_addc_co_u32_e32 v9, vcc, v7, v9, vcc
	v_mad_u64_u32 v[7:8], s[0:1], v5, v9, 0
	v_mul_hi_u32 v10, v5, v4
	v_add_co_u32_e32 v11, vcc, v10, v7
	v_addc_co_u32_e32 v12, vcc, 0, v8, vcc
	v_mad_u64_u32 v[7:8], s[0:1], v6, v4, 0
	v_mad_u64_u32 v[9:10], s[0:1], v6, v9, 0
	v_add_co_u32_e32 v4, vcc, v11, v7
	v_addc_co_u32_e32 v4, vcc, v12, v8, vcc
	v_addc_co_u32_e32 v7, vcc, 0, v10, vcc
	v_add_co_u32_e32 v4, vcc, v4, v9
	v_addc_co_u32_e32 v9, vcc, 0, v7, vcc
	v_mul_lo_u32 v10, s25, v4
	v_mul_lo_u32 v11, s24, v9
	v_mad_u64_u32 v[7:8], s[0:1], s24, v4, 0
	v_add3_u32 v8, v8, v11, v10
	v_sub_u32_e32 v10, v6, v8
	v_mov_b32_e32 v11, s25
	v_sub_co_u32_e32 v7, vcc, v5, v7
	v_subb_co_u32_e64 v10, s[0:1], v10, v11, vcc
	v_subrev_co_u32_e64 v11, s[0:1], s24, v7
	v_subbrev_co_u32_e64 v10, s[0:1], 0, v10, s[0:1]
	v_cmp_le_u32_e64 s[0:1], s25, v10
	v_cndmask_b32_e64 v12, 0, -1, s[0:1]
	v_cmp_le_u32_e64 s[0:1], s24, v11
	v_cndmask_b32_e64 v11, 0, -1, s[0:1]
	v_cmp_eq_u32_e64 s[0:1], s25, v10
	v_cndmask_b32_e64 v10, v12, v11, s[0:1]
	v_add_co_u32_e64 v11, s[0:1], 2, v4
	v_addc_co_u32_e64 v12, s[0:1], 0, v9, s[0:1]
	v_add_co_u32_e64 v13, s[0:1], 1, v4
	v_addc_co_u32_e64 v14, s[0:1], 0, v9, s[0:1]
	v_subb_co_u32_e32 v8, vcc, v6, v8, vcc
	v_cmp_ne_u32_e64 s[0:1], 0, v10
	v_cmp_le_u32_e32 vcc, s25, v8
	v_cndmask_b32_e64 v10, v14, v12, s[0:1]
	v_cndmask_b32_e64 v12, 0, -1, vcc
	v_cmp_le_u32_e32 vcc, s24, v7
	v_cndmask_b32_e64 v7, 0, -1, vcc
	v_cmp_eq_u32_e32 vcc, s25, v8
	v_cndmask_b32_e32 v7, v12, v7, vcc
	v_cmp_ne_u32_e32 vcc, 0, v7
	v_cndmask_b32_e64 v7, v13, v11, s[0:1]
	v_cndmask_b32_e32 v19, v9, v10, vcc
	v_cndmask_b32_e32 v18, v4, v7, vcc
.LBB0_4:                                ;   in Loop: Header=BB0_2 Depth=1
	s_andn2_saveexec_b64 s[0:1], s[26:27]
	s_cbranch_execz .LBB0_6
; %bb.5:                                ;   in Loop: Header=BB0_2 Depth=1
	v_cvt_f32_u32_e32 v4, s24
	s_sub_i32 s26, 0, s24
	v_mov_b32_e32 v19, v3
	v_rcp_iflag_f32_e32 v4, v4
	v_mul_f32_e32 v4, 0x4f7ffffe, v4
	v_cvt_u32_f32_e32 v4, v4
	v_mul_lo_u32 v7, s26, v4
	v_mul_hi_u32 v7, v4, v7
	v_add_u32_e32 v4, v4, v7
	v_mul_hi_u32 v4, v5, v4
	v_mul_lo_u32 v7, v4, s24
	v_add_u32_e32 v8, 1, v4
	v_sub_u32_e32 v7, v5, v7
	v_subrev_u32_e32 v9, s24, v7
	v_cmp_le_u32_e32 vcc, s24, v7
	v_cndmask_b32_e32 v7, v7, v9, vcc
	v_cndmask_b32_e32 v4, v4, v8, vcc
	v_add_u32_e32 v8, 1, v4
	v_cmp_le_u32_e32 vcc, s24, v7
	v_cndmask_b32_e32 v18, v4, v8, vcc
.LBB0_6:                                ;   in Loop: Header=BB0_2 Depth=1
	s_or_b64 exec, exec, s[0:1]
	v_mul_lo_u32 v4, v19, s24
	v_mul_lo_u32 v9, v18, s25
	v_mad_u64_u32 v[7:8], s[0:1], v18, s24, 0
	s_load_dwordx2 s[0:1], s[6:7], 0x0
	s_load_dwordx2 s[24:25], s[2:3], 0x0
	v_add3_u32 v4, v8, v9, v4
	v_sub_co_u32_e32 v5, vcc, v5, v7
	v_subb_co_u32_e32 v4, vcc, v6, v4, vcc
	s_waitcnt lgkmcnt(0)
	v_mul_lo_u32 v6, s0, v4
	v_mul_lo_u32 v7, s1, v5
	v_mad_u64_u32 v[1:2], s[0:1], s0, v5, v[1:2]
	v_mul_lo_u32 v4, s24, v4
	v_mul_lo_u32 v8, s25, v5
	v_mad_u64_u32 v[16:17], s[0:1], s24, v5, v[16:17]
	s_add_u32 s22, s22, 1
	s_addc_u32 s23, s23, 0
	s_add_u32 s2, s2, 8
	v_add3_u32 v17, v8, v17, v4
	s_addc_u32 s3, s3, 0
	v_mov_b32_e32 v4, s14
	s_add_u32 s6, s6, 8
	v_mov_b32_e32 v5, s15
	s_addc_u32 s7, s7, 0
	v_cmp_ge_u64_e32 vcc, s[22:23], v[4:5]
	s_add_u32 s20, s20, 8
	v_add3_u32 v2, v7, v2, v6
	s_addc_u32 s21, s21, 0
	s_cbranch_vccnz .LBB0_9
; %bb.7:                                ;   in Loop: Header=BB0_2 Depth=1
	v_mov_b32_e32 v5, v18
	v_mov_b32_e32 v6, v19
	s_branch .LBB0_2
.LBB0_8:
	v_mov_b32_e32 v17, v2
	v_mov_b32_e32 v19, v6
	;; [unrolled: 1-line block ×4, first 2 shown]
.LBB0_9:
	s_load_dwordx2 s[4:5], s[4:5], 0x28
	s_lshl_b64 s[6:7], s[14:15], 3
	s_add_u32 s2, s18, s6
	s_addc_u32 s3, s19, s7
                                        ; implicit-def: $vgpr20
	s_waitcnt lgkmcnt(0)
	v_cmp_gt_u64_e64 s[0:1], s[4:5], v[18:19]
	v_cmp_le_u64_e32 vcc, s[4:5], v[18:19]
	s_and_saveexec_b64 s[4:5], vcc
	s_xor_b64 s[4:5], exec, s[4:5]
; %bb.10:
	s_mov_b32 s14, 0x14e5e0b
	v_mul_hi_u32 v1, v0, s14
	v_mul_u32_u24_e32 v1, 0xc4, v1
	v_sub_u32_e32 v20, v0, v1
                                        ; implicit-def: $vgpr0
                                        ; implicit-def: $vgpr1_vgpr2
; %bb.11:
	s_andn2_saveexec_b64 s[4:5], s[4:5]
	s_cbranch_execz .LBB0_13
; %bb.12:
	s_add_u32 s6, s16, s6
	s_addc_u32 s7, s17, s7
	s_load_dwordx2 s[6:7], s[6:7], 0x0
	s_mov_b32 s14, 0x14e5e0b
	v_mul_hi_u32 v5, v0, s14
	s_waitcnt lgkmcnt(0)
	v_mul_lo_u32 v6, s7, v18
	v_mul_lo_u32 v7, s6, v19
	v_mad_u64_u32 v[3:4], s[6:7], s6, v18, 0
	v_mul_u32_u24_e32 v5, 0xc4, v5
	v_sub_u32_e32 v20, v0, v5
	v_add3_u32 v4, v4, v7, v6
	v_lshlrev_b64 v[3:4], 3, v[3:4]
	v_mov_b32_e32 v0, s9
	v_add_co_u32_e32 v3, vcc, s8, v3
	v_addc_co_u32_e32 v4, vcc, v0, v4, vcc
	v_lshlrev_b64 v[0:1], 3, v[1:2]
	v_lshlrev_b32_e32 v14, 3, v20
	v_add_co_u32_e32 v0, vcc, v3, v0
	v_addc_co_u32_e32 v1, vcc, v4, v1, vcc
	v_add_co_u32_e32 v0, vcc, v0, v14
	v_addc_co_u32_e32 v1, vcc, 0, v1, vcc
	;; [unrolled: 2-line block ×3, first 2 shown]
	global_load_dwordx2 v[4:5], v[0:1], off
	global_load_dwordx2 v[6:7], v[0:1], off offset:1568
	global_load_dwordx2 v[8:9], v[0:1], off offset:3136
	;; [unrolled: 1-line block ×4, first 2 shown]
	v_add_u32_e32 v0, 0, v14
	v_add_u32_e32 v1, 0xc00, v0
	s_waitcnt vmcnt(3)
	ds_write2_b64 v0, v[4:5], v[6:7] offset1:196
	s_waitcnt vmcnt(1)
	ds_write2_b64 v1, v[8:9], v[10:11] offset0:8 offset1:204
	s_waitcnt vmcnt(0)
	ds_write_b64 v0, v[12:13] offset:6272
.LBB0_13:
	s_or_b64 exec, exec, s[4:5]
	v_lshl_add_u32 v22, v20, 3, 0
	v_add_u32_e32 v0, 0x800, v22
	v_add_u32_e32 v4, 0x1000, v22
	s_waitcnt lgkmcnt(0)
	s_barrier
	ds_read2_b64 v[0:3], v0 offset0:24 offset1:164
	ds_read2_b64 v[4:7], v4 offset0:48 offset1:188
	s_mov_b32 s4, 0xbf3bfb3b
	s_waitcnt lgkmcnt(0)
	v_add_f32_e32 v10, v0, v6
	v_add_f32_e32 v11, v1, v7
	v_sub_f32_e32 v12, v0, v6
	v_sub_f32_e32 v13, v1, v7
	ds_read2_b64 v[6:9], v22 offset1:140
	ds_read_b64 v[0:1], v22 offset:6720
	v_add_f32_e32 v15, v3, v5
	v_sub_f32_e32 v3, v5, v3
	v_add_f32_e32 v14, v2, v4
	v_sub_f32_e32 v2, v4, v2
	s_waitcnt lgkmcnt(0)
	v_add_f32_e32 v5, v8, v0
	v_add_f32_e32 v21, v9, v1
	v_sub_f32_e32 v8, v8, v0
	v_add_f32_e32 v0, v10, v5
	v_add_f32_e32 v24, v14, v0
	;; [unrolled: 1-line block ×4, first 2 shown]
	v_sub_f32_e32 v23, v9, v1
	v_add_f32_e32 v0, v6, v24
	v_add_f32_e32 v1, v7, v25
	v_sub_f32_e32 v4, v10, v5
	v_sub_f32_e32 v26, v5, v14
	;; [unrolled: 1-line block ×6, first 2 shown]
	v_add_f32_e32 v6, v2, v12
	v_sub_f32_e32 v11, v2, v12
	v_add_f32_e32 v7, v3, v13
	v_sub_f32_e32 v15, v3, v13
	v_sub_f32_e32 v2, v8, v2
	;; [unrolled: 1-line block ×3, first 2 shown]
	v_add_f32_e32 v6, v6, v8
	v_sub_f32_e32 v3, v23, v3
	v_sub_f32_e32 v13, v13, v23
	v_add_f32_e32 v7, v7, v23
	v_mov_b32_e32 v8, v0
	v_mul_f32_e32 v23, 0x3f4a47b2, v26
	v_mul_f32_e32 v27, 0x3f4a47b2, v14
	;; [unrolled: 1-line block ×4, first 2 shown]
	v_fmac_f32_e32 v8, 0xbf955555, v24
	v_mov_b32_e32 v24, v1
	v_mul_f32_e32 v30, 0x3f5ff5aa, v12
	v_mul_f32_e32 v21, 0x3f5ff5aa, v13
	v_fma_f32 v12, v4, s4, -v23
	v_fma_f32 v13, v9, s4, -v27
	v_mov_b32_e32 v11, v28
	v_mov_b32_e32 v14, v15
	s_mov_b32 s4, 0xbeae86e6
	v_fmac_f32_e32 v24, 0xbf955555, v25
	v_fmac_f32_e32 v23, 0x3d64c772, v5
	;; [unrolled: 1-line block ×5, first 2 shown]
	v_fma_f32 v25, v2, s4, -v30
	v_fma_f32 v26, v3, s4, -v21
	v_add_f32_e32 v23, v23, v8
	v_add_f32_e32 v27, v27, v24
	;; [unrolled: 1-line block ×4, first 2 shown]
	v_fmac_f32_e32 v11, 0x3ee1c552, v6
	v_fmac_f32_e32 v14, 0x3ee1c552, v7
	;; [unrolled: 1-line block ×4, first 2 shown]
	s_movk_i32 s4, 0x8c
	v_sub_f32_e32 v2, v29, v26
	v_add_f32_e32 v3, v25, v31
	v_sub_f32_e32 v12, v23, v14
	v_add_f32_e32 v13, v11, v27
	v_cmp_gt_u32_e32 vcc, s4, v20
	s_barrier
	s_and_saveexec_b64 s[4:5], vcc
	s_cbranch_execz .LBB0_15
; %bb.14:
	v_mul_f32_e32 v10, 0x3d64c772, v10
	v_mul_f32_e32 v9, 0x3f3bfb3b, v9
	v_sub_f32_e32 v9, v9, v10
	v_sub_f32_e32 v10, v30, v28
	v_mul_f32_e32 v6, 0x3ee1c552, v6
	v_mul_f32_e32 v5, 0x3d64c772, v5
	;; [unrolled: 1-line block ×3, first 2 shown]
	v_add_f32_e32 v6, v6, v10
	v_sub_f32_e32 v10, v21, v15
	v_mul_f32_e32 v7, 0x3ee1c552, v7
	v_sub_f32_e32 v4, v4, v5
	v_add_f32_e32 v9, v9, v24
	v_add_f32_e32 v10, v7, v10
	;; [unrolled: 1-line block ×3, first 2 shown]
	v_sub_f32_e32 v5, v9, v6
	v_add_f32_e32 v4, v10, v8
	v_add_f32_e32 v7, v6, v9
	v_sub_f32_e32 v6, v8, v10
	v_sub_f32_e32 v11, v27, v11
	v_add_f32_e32 v10, v23, v14
	v_mad_u32_u24 v14, v20, 48, v22
	v_sub_f32_e32 v9, v31, v25
	v_add_f32_e32 v8, v26, v29
	ds_write2_b64 v14, v[0:1], v[10:11] offset1:1
	ds_write2_b64 v14, v[8:9], v[6:7] offset0:2 offset1:3
	ds_write2_b64 v14, v[4:5], v[2:3] offset0:4 offset1:5
	ds_write_b64 v14, v[12:13] offset:48
.LBB0_15:
	s_or_b64 exec, exec, s[4:5]
	v_mov_b32_e32 v0, 37
	v_mul_lo_u16_sdwa v0, v20, v0 dst_sel:DWORD dst_unused:UNUSED_PAD src0_sel:BYTE_0 src1_sel:DWORD
	v_sub_u16_sdwa v1, v20, v0 dst_sel:DWORD dst_unused:UNUSED_PAD src0_sel:DWORD src1_sel:BYTE_1
	v_lshrrev_b16_e32 v1, 1, v1
	v_and_b32_e32 v1, 0x7f, v1
	v_add_u16_sdwa v0, v1, v0 dst_sel:DWORD dst_unused:UNUSED_PAD src0_sel:DWORD src1_sel:BYTE_1
	v_lshrrev_b16_e32 v14, 2, v0
	v_mul_lo_u16_e32 v0, 7, v14
	v_sub_u16_e32 v15, v20, v0
	v_mov_b32_e32 v0, 5
	v_lshlrev_b32_sdwa v0, v0, v15 dst_sel:DWORD dst_unused:UNUSED_PAD src0_sel:DWORD src1_sel:BYTE_0
	s_load_dwordx2 s[2:3], s[2:3], 0x0
	s_waitcnt lgkmcnt(0)
	s_barrier
	global_load_dwordx4 v[4:7], v0, s[12:13]
	global_load_dwordx4 v[8:11], v0, s[12:13] offset:16
	v_add_u32_e32 v0, 0x600, v22
	ds_read2_b64 v[23:26], v0 offset0:4 offset1:200
	v_add_u32_e32 v0, 0x1200, v22
	ds_read2_b64 v[27:30], v0 offset0:12 offset1:208
	v_mul_u32_u24_e32 v14, 0x118, v14
	s_waitcnt vmcnt(1) lgkmcnt(1)
	v_mul_f32_e32 v0, v5, v24
	v_mul_f32_e32 v1, v5, v23
	;; [unrolled: 1-line block ×4, first 2 shown]
	v_fma_f32 v0, v4, v23, -v0
	v_fmac_f32_e32 v1, v4, v24
	v_fma_f32 v4, v6, v25, -v5
	v_fmac_f32_e32 v21, v6, v26
	ds_read2_b32 v[6:7], v22 offset1:1
	s_waitcnt vmcnt(0) lgkmcnt(1)
	v_mul_f32_e32 v5, v9, v28
	v_mul_f32_e32 v9, v9, v27
	v_mul_f32_e32 v23, v11, v30
	v_mul_f32_e32 v24, v11, v29
	v_fma_f32 v5, v8, v27, -v5
	v_fmac_f32_e32 v9, v8, v28
	v_fma_f32 v8, v10, v29, -v23
	v_fmac_f32_e32 v24, v10, v30
	v_sub_f32_e32 v26, v0, v4
	v_sub_f32_e32 v27, v8, v5
	s_waitcnt lgkmcnt(0)
	v_add_f32_e32 v10, v0, v6
	v_add_f32_e32 v11, v4, v5
	;; [unrolled: 1-line block ×3, first 2 shown]
	v_sub_f32_e32 v29, v4, v0
	v_sub_f32_e32 v30, v5, v8
	v_add_f32_e32 v32, v21, v9
	v_add_f32_e32 v26, v26, v27
	;; [unrolled: 1-line block ×3, first 2 shown]
	v_sub_f32_e32 v23, v1, v24
	v_add_f32_e32 v31, v7, v1
	v_sub_f32_e32 v33, v0, v8
	v_add_f32_e32 v10, v10, v4
	v_sub_f32_e32 v34, v4, v5
	v_fma_f32 v0, -0.5, v11, v6
	v_sub_f32_e32 v4, v1, v21
	v_sub_f32_e32 v11, v24, v9
	v_fma_f32 v6, -0.5, v28, v6
	v_sub_f32_e32 v28, v21, v1
	v_add_f32_e32 v29, v29, v30
	v_sub_f32_e32 v30, v9, v24
	v_fma_f32 v1, -0.5, v32, v7
	v_fmac_f32_e32 v7, -0.5, v27
	v_sub_f32_e32 v25, v21, v9
	v_add_f32_e32 v21, v31, v21
	v_add_f32_e32 v31, v4, v11
	;; [unrolled: 1-line block ×4, first 2 shown]
	v_mov_b32_e32 v10, v0
	v_mov_b32_e32 v4, v6
	;; [unrolled: 1-line block ×4, first 2 shown]
	v_fmac_f32_e32 v0, 0xbf737871, v23
	v_fmac_f32_e32 v6, 0x3f737871, v25
	v_add_f32_e32 v9, v21, v9
	v_fmac_f32_e32 v1, 0x3f737871, v33
	v_fmac_f32_e32 v7, 0xbf737871, v34
	;; [unrolled: 1-line block ×6, first 2 shown]
	v_mov_b32_e32 v21, 3
	v_fmac_f32_e32 v0, 0xbf167918, v25
	v_fmac_f32_e32 v6, 0xbf167918, v23
	;; [unrolled: 1-line block ×8, first 2 shown]
	v_lshlrev_b32_sdwa v15, v21, v15 dst_sel:DWORD dst_unused:UNUSED_PAD src0_sel:DWORD src1_sel:BYTE_0
	v_add_f32_e32 v8, v28, v8
	v_add_f32_e32 v9, v9, v24
	v_fmac_f32_e32 v0, 0x3e9e377a, v26
	v_fmac_f32_e32 v6, 0x3e9e377a, v29
	;; [unrolled: 1-line block ×8, first 2 shown]
	v_add3_u32 v14, 0, v14, v15
	s_barrier
	ds_write2_b64 v14, v[8:9], v[10:11] offset1:7
	ds_write2_b64 v14, v[4:5], v[6:7] offset0:14 offset1:21
	ds_write_b64 v14, v[0:1] offset:224
	s_waitcnt lgkmcnt(0)
	s_barrier
	s_and_saveexec_b64 s[4:5], vcc
	s_cbranch_execz .LBB0_17
; %bb.16:
	v_add_u32_e32 v0, 0x800, v22
	ds_read2_b64 v[4:7], v0 offset0:24 offset1:164
	v_add_u32_e32 v0, 0x1000, v22
	ds_read2_b64 v[8:11], v22 offset1:140
	ds_read2_b64 v[0:3], v0 offset0:48 offset1:188
	ds_read_b64 v[12:13], v22 offset:6720
.LBB0_17:
	s_or_b64 exec, exec, s[4:5]
	s_movk_i32 s4, 0xeb
	v_mul_lo_u16_sdwa v14, v20, s4 dst_sel:DWORD dst_unused:UNUSED_PAD src0_sel:BYTE_0 src1_sel:DWORD
	v_lshrrev_b16_e32 v14, 13, v14
	v_mul_lo_u16_e32 v15, 35, v14
	v_sub_u16_e32 v15, v20, v15
	v_mov_b32_e32 v21, 6
	v_mul_u32_u24_sdwa v21, v15, v21 dst_sel:DWORD dst_unused:UNUSED_PAD src0_sel:BYTE_0 src1_sel:DWORD
	v_lshlrev_b32_e32 v21, 3, v21
	global_load_dwordx4 v[23:26], v21, s[12:13] offset:224
	global_load_dwordx4 v[27:30], v21, s[12:13] offset:240
	s_mov_b32 s4, 0x3f5ff5aa
	s_mov_b32 s5, 0x3f3bfb3b
	;; [unrolled: 1-line block ×4, first 2 shown]
	s_waitcnt vmcnt(1) lgkmcnt(2)
	v_mul_f32_e32 v31, v11, v24
	v_mul_f32_e32 v32, v10, v24
	;; [unrolled: 1-line block ×4, first 2 shown]
	v_fma_f32 v10, v10, v23, -v31
	v_fmac_f32_e32 v32, v11, v23
	v_fma_f32 v4, v4, v25, -v24
	v_fmac_f32_e32 v33, v5, v25
	global_load_dwordx4 v[23:26], v21, s[12:13] offset:256
	s_waitcnt vmcnt(1)
	v_mul_f32_e32 v5, v7, v28
	v_mul_f32_e32 v11, v6, v28
	v_fma_f32 v5, v6, v27, -v5
	v_fmac_f32_e32 v11, v7, v27
	s_waitcnt lgkmcnt(1)
	v_mul_f32_e32 v6, v1, v30
	v_mul_f32_e32 v7, v0, v30
	v_fma_f32 v0, v0, v29, -v6
	v_fmac_f32_e32 v7, v1, v29
	s_waitcnt vmcnt(0) lgkmcnt(0)
	s_barrier
	v_mul_f32_e32 v21, v3, v24
	v_mul_f32_e32 v24, v2, v24
	;; [unrolled: 1-line block ×4, first 2 shown]
	v_fma_f32 v2, v2, v23, -v21
	v_fmac_f32_e32 v24, v3, v23
	v_fma_f32 v1, v12, v25, -v1
	v_fmac_f32_e32 v6, v13, v25
	v_add_f32_e32 v3, v10, v1
	v_add_f32_e32 v12, v32, v6
	v_sub_f32_e32 v1, v10, v1
	v_add_f32_e32 v10, v4, v2
	v_add_f32_e32 v13, v33, v24
	v_sub_f32_e32 v2, v4, v2
	v_sub_f32_e32 v4, v33, v24
	v_add_f32_e32 v21, v5, v0
	v_add_f32_e32 v23, v11, v7
	v_sub_f32_e32 v0, v0, v5
	;; [unrolled: 4-line block ×3, first 2 shown]
	v_sub_f32_e32 v24, v10, v3
	v_sub_f32_e32 v25, v13, v12
	;; [unrolled: 1-line block ×6, first 2 shown]
	v_add_f32_e32 v10, v0, v2
	v_add_f32_e32 v27, v5, v4
	v_sub_f32_e32 v28, v0, v2
	v_sub_f32_e32 v29, v5, v4
	v_add_f32_e32 v21, v21, v7
	v_add_f32_e32 v23, v23, v11
	v_sub_f32_e32 v0, v1, v0
	v_sub_f32_e32 v5, v6, v5
	;; [unrolled: 1-line block ×4, first 2 shown]
	v_add_f32_e32 v1, v10, v1
	v_add_f32_e32 v30, v27, v6
	v_mul_f32_e32 v10, 0xbf08b237, v28
	v_mul_f32_e32 v11, 0xbf08b237, v29
	v_add_f32_e32 v6, v8, v21
	v_add_f32_e32 v7, v9, v23
	v_mul_f32_e32 v3, 0x3f4a47b2, v3
	v_mul_f32_e32 v27, 0x3f4a47b2, v12
	;; [unrolled: 1-line block ×6, first 2 shown]
	v_fma_f32 v8, v2, s4, -v10
	v_fma_f32 v9, v4, s4, -v11
	v_mov_b32_e32 v2, v6
	v_mov_b32_e32 v4, v7
	v_fma_f32 v32, v24, s5, -v12
	v_fma_f32 v31, v25, s5, -v31
	v_fma_f32 v33, v24, s6, -v3
	v_fmac_f32_e32 v3, 0x3d64c772, v26
	v_fma_f32 v34, v25, s6, -v27
	v_fmac_f32_e32 v27, 0x3d64c772, v13
	v_fmac_f32_e32 v10, 0x3eae86e6, v0
	v_fmac_f32_e32 v11, 0x3eae86e6, v5
	v_fmac_f32_e32 v2, 0xbf955555, v21
	v_fmac_f32_e32 v4, 0xbf955555, v23
	v_fma_f32 v13, v0, s7, -v28
	v_fma_f32 v21, v5, s7, -v29
	v_add_f32_e32 v12, v3, v2
	v_add_f32_e32 v23, v27, v4
	;; [unrolled: 1-line block ×6, first 2 shown]
	v_fmac_f32_e32 v10, 0x3ee1c552, v1
	v_fmac_f32_e32 v11, 0x3ee1c552, v30
	;; [unrolled: 1-line block ×6, first 2 shown]
	v_add_f32_e32 v0, v9, v24
	v_sub_f32_e32 v1, v26, v8
	v_sub_f32_e32 v2, v25, v21
	v_add_f32_e32 v3, v13, v27
	v_sub_f32_e32 v4, v12, v11
	v_add_f32_e32 v5, v10, v23
	s_and_saveexec_b64 s[4:5], vcc
	s_cbranch_execz .LBB0_19
; %bb.18:
	v_add_f32_e32 v12, v11, v12
	v_mov_b32_e32 v11, 3
	v_sub_f32_e32 v28, v24, v9
	v_sub_f32_e32 v9, v27, v13
	;; [unrolled: 1-line block ×3, first 2 shown]
	v_mul_u32_u24_e32 v10, 0x7a8, v14
	v_lshlrev_b32_sdwa v11, v11, v15 dst_sel:DWORD dst_unused:UNUSED_PAD src0_sel:DWORD src1_sel:BYTE_0
	v_add3_u32 v10, 0, v10, v11
	v_add_f32_e32 v29, v8, v26
	v_add_f32_e32 v8, v21, v25
	ds_write2_b64 v10, v[6:7], v[12:13] offset1:35
	ds_write2_b64 v10, v[8:9], v[28:29] offset0:70 offset1:105
	ds_write2_b64 v10, v[0:1], v[2:3] offset0:140 offset1:175
	ds_write_b64 v10, v[4:5] offset:1680
.LBB0_19:
	s_or_b64 exec, exec, s[4:5]
	v_add_u32_e32 v21, 0xf00, v22
	s_waitcnt lgkmcnt(0)
	s_barrier
	ds_read2_b64 v[8:11], v22 offset1:245
	ds_read2_b64 v[12:15], v21 offset0:10 offset1:255
	v_cmp_gt_u32_e32 vcc, 49, v20
	s_and_saveexec_b64 s[4:5], vcc
	s_cbranch_execz .LBB0_21
; %bb.20:
	v_add_u32_e32 v0, 0x600, v22
	v_add_u32_e32 v4, 0x1540, v22
	ds_read2_b64 v[0:3], v0 offset0:4 offset1:249
	ds_read2_b64 v[4:7], v4 offset0:6 offset1:251
.LBB0_21:
	s_or_b64 exec, exec, s[4:5]
	v_mul_u32_u24_e32 v23, 3, v20
	v_lshlrev_b32_e32 v29, 3, v23
	global_load_dwordx4 v[23:26], v29, s[12:13] offset:1904
	global_load_dwordx2 v[27:28], v29, s[12:13] offset:1920
	s_waitcnt vmcnt(0) lgkmcnt(0)
	s_barrier
	v_mul_f32_e32 v29, v24, v11
	v_mul_f32_e32 v24, v24, v10
	;; [unrolled: 1-line block ×6, first 2 shown]
	v_fma_f32 v10, v23, v10, -v29
	v_fmac_f32_e32 v24, v23, v11
	v_fma_f32 v11, v25, v12, -v30
	v_fmac_f32_e32 v26, v25, v13
	;; [unrolled: 2-line block ×3, first 2 shown]
	v_sub_f32_e32 v13, v8, v11
	v_sub_f32_e32 v14, v9, v26
	;; [unrolled: 1-line block ×4, first 2 shown]
	v_fma_f32 v15, v8, 2.0, -v13
	v_fma_f32 v23, v9, 2.0, -v14
	;; [unrolled: 1-line block ×4, first 2 shown]
	v_sub_f32_e32 v8, v13, v12
	v_add_f32_e32 v9, v14, v11
	v_sub_f32_e32 v10, v15, v10
	v_sub_f32_e32 v11, v23, v24
	v_fma_f32 v12, v13, 2.0, -v8
	v_fma_f32 v13, v14, 2.0, -v9
	;; [unrolled: 1-line block ×4, first 2 shown]
	ds_write2_b64 v22, v[14:15], v[12:13] offset1:245
	ds_write2_b64 v21, v[10:11], v[8:9] offset0:10 offset1:255
	s_and_saveexec_b64 s[4:5], vcc
	s_cbranch_execz .LBB0_23
; %bb.22:
	v_add_u32_e32 v8, 0xc4, v20
	v_subrev_u32_e32 v9, 49, v20
	v_cndmask_b32_e32 v8, v9, v8, vcc
	v_mul_i32_i24_e32 v8, 3, v8
	v_mov_b32_e32 v9, 0
	v_lshlrev_b64 v[8:9], 3, v[8:9]
	v_mov_b32_e32 v10, s13
	v_add_co_u32_e32 v12, vcc, s12, v8
	v_addc_co_u32_e32 v13, vcc, v10, v9, vcc
	global_load_dwordx4 v[8:11], v[12:13], off offset:1904
	global_load_dwordx2 v[14:15], v[12:13], off offset:1920
	v_add_u32_e32 v12, 0x600, v22
	v_add_u32_e32 v13, 0x1540, v22
	s_waitcnt vmcnt(1)
	v_mul_f32_e32 v21, v4, v11
	v_mul_f32_e32 v23, v3, v9
	s_waitcnt vmcnt(0)
	v_mul_f32_e32 v24, v7, v15
	v_mul_f32_e32 v11, v5, v11
	;; [unrolled: 1-line block ×4, first 2 shown]
	v_fmac_f32_e32 v21, v5, v10
	v_fma_f32 v5, v2, v8, -v23
	v_fma_f32 v2, v6, v14, -v24
	;; [unrolled: 1-line block ×3, first 2 shown]
	v_fmac_f32_e32 v9, v3, v8
	v_fmac_f32_e32 v15, v7, v14
	v_sub_f32_e32 v6, v1, v21
	v_sub_f32_e32 v7, v5, v2
	;; [unrolled: 1-line block ×4, first 2 shown]
	v_add_f32_e32 v3, v6, v7
	v_sub_f32_e32 v2, v4, v8
	v_fma_f32 v10, v1, 2.0, -v6
	v_fma_f32 v8, v9, 2.0, -v8
	;; [unrolled: 1-line block ×5, first 2 shown]
	v_sub_f32_e32 v5, v10, v8
	v_sub_f32_e32 v4, v9, v7
	v_fma_f32 v1, v6, 2.0, -v3
	v_fma_f32 v7, v10, 2.0, -v5
	;; [unrolled: 1-line block ×3, first 2 shown]
	ds_write2_b64 v12, v[6:7], v[0:1] offset0:4 offset1:249
	ds_write2_b64 v13, v[4:5], v[2:3] offset0:6 offset1:251
.LBB0_23:
	s_or_b64 exec, exec, s[4:5]
	s_waitcnt lgkmcnt(0)
	s_barrier
	ds_read_b64 v[2:3], v22
	s_add_u32 s6, s12, 0x1e68
	v_lshlrev_b32_e32 v0, 3, v20
	s_addc_u32 s7, s13, 0
	v_sub_u32_e32 v6, 0, v0
	v_cmp_ne_u32_e32 vcc, 0, v20
                                        ; implicit-def: $vgpr1
                                        ; implicit-def: $vgpr7
                                        ; implicit-def: $vgpr4_vgpr5
	s_and_saveexec_b64 s[4:5], vcc
	s_xor_b64 s[4:5], exec, s[4:5]
	s_cbranch_execz .LBB0_25
; %bb.24:
	v_mov_b32_e32 v21, 0
	v_lshlrev_b64 v[0:1], 3, v[20:21]
	v_mov_b32_e32 v4, s7
	v_add_co_u32_e32 v0, vcc, s6, v0
	v_addc_co_u32_e32 v1, vcc, v4, v1, vcc
	global_load_dwordx2 v[0:1], v[0:1], off
	ds_read_b64 v[4:5], v6 offset:7840
	s_waitcnt lgkmcnt(0)
	v_add_f32_e32 v8, v4, v2
	v_sub_f32_e32 v2, v2, v4
	v_add_f32_e32 v7, v5, v3
	v_sub_f32_e32 v3, v3, v5
	v_mul_f32_e32 v2, 0.5, v2
	v_mul_f32_e32 v4, 0.5, v7
	;; [unrolled: 1-line block ×3, first 2 shown]
	s_waitcnt vmcnt(0)
	v_mul_f32_e32 v5, v1, v2
	v_fma_f32 v7, v4, v1, v3
	v_fma_f32 v1, v4, v1, -v3
	v_fma_f32 v3, 0.5, v8, v5
	v_fma_f32 v5, v8, 0.5, -v5
	v_fma_f32 v7, -v0, v2, v7
	v_fma_f32 v1, -v0, v2, v1
	v_fmac_f32_e32 v3, v0, v4
	v_fma_f32 v0, -v0, v4, v5
	v_mov_b32_e32 v4, v20
	ds_write_b32 v22, v3
	v_mov_b32_e32 v5, v21
                                        ; implicit-def: $vgpr2_vgpr3
.LBB0_25:
	s_andn2_saveexec_b64 s[4:5], s[4:5]
	s_cbranch_execz .LBB0_27
; %bb.26:
	v_mov_b32_e32 v7, 0
	ds_read_b32 v1, v7 offset:3924
	v_mov_b32_e32 v4, 0
	s_waitcnt lgkmcnt(1)
	v_add_f32_e32 v8, v2, v3
	v_sub_f32_e32 v0, v2, v3
	v_mov_b32_e32 v5, 0
	s_waitcnt lgkmcnt(0)
	v_xor_b32_e32 v1, 0x80000000, v1
	ds_write_b32 v7, v1 offset:3924
	v_mov_b32_e32 v1, v7
	ds_write_b32 v22, v8
.LBB0_27:
	s_or_b64 exec, exec, s[4:5]
	s_waitcnt lgkmcnt(0)
	v_lshlrev_b64 v[2:3], 3, v[4:5]
	v_mov_b32_e32 v4, s7
	v_add_co_u32_e32 v2, vcc, s6, v2
	v_addc_co_u32_e32 v3, vcc, v4, v3, vcc
	global_load_dwordx2 v[4:5], v[2:3], off offset:1568
	ds_write_b32 v22, v7 offset:4
	ds_write_b64 v6, v[0:1] offset:7840
	ds_read_b64 v[0:1], v22 offset:1568
	ds_read_b64 v[7:8], v6 offset:6272
	s_movk_i32 s4, 0x62
	v_cmp_gt_u32_e32 vcc, s4, v20
	s_waitcnt lgkmcnt(0)
	v_add_f32_e32 v9, v0, v7
	v_sub_f32_e32 v0, v0, v7
	v_add_f32_e32 v10, v1, v8
	v_sub_f32_e32 v1, v1, v8
	v_mul_f32_e32 v8, 0.5, v0
	v_mul_f32_e32 v7, 0.5, v10
	;; [unrolled: 1-line block ×3, first 2 shown]
	s_waitcnt vmcnt(0)
	v_mul_f32_e32 v10, v5, v8
	v_fma_f32 v1, v7, v5, v0
	v_fma_f32 v5, v7, v5, -v0
	v_fma_f32 v0, 0.5, v9, v10
	v_fma_f32 v1, -v4, v8, v1
	v_fma_f32 v9, v9, 0.5, -v10
	v_fmac_f32_e32 v0, v4, v7
	v_fma_f32 v5, -v4, v8, v5
	v_fma_f32 v4, -v4, v7, v9
	ds_write_b64 v22, v[0:1] offset:1568
	ds_write_b64 v6, v[4:5] offset:6272
	s_and_saveexec_b64 s[4:5], vcc
	s_cbranch_execz .LBB0_29
; %bb.28:
	global_load_dwordx2 v[0:1], v[2:3], off offset:3136
	ds_read_b64 v[2:3], v22 offset:3136
	ds_read_b64 v[4:5], v6 offset:4704
	s_waitcnt lgkmcnt(0)
	v_add_f32_e32 v7, v2, v4
	v_sub_f32_e32 v2, v2, v4
	v_add_f32_e32 v8, v3, v5
	v_sub_f32_e32 v3, v3, v5
	v_mul_f32_e32 v4, 0.5, v2
	v_mul_f32_e32 v5, 0.5, v8
	;; [unrolled: 1-line block ×3, first 2 shown]
	s_waitcnt vmcnt(0)
	v_mul_f32_e32 v3, v1, v4
	v_fma_f32 v8, v5, v1, v2
	v_fma_f32 v9, v5, v1, -v2
	v_fma_f32 v1, 0.5, v7, v3
	v_fma_f32 v2, -v0, v4, v8
	v_fma_f32 v3, v7, 0.5, -v3
	v_fmac_f32_e32 v1, v0, v5
	v_fma_f32 v4, -v0, v4, v9
	v_fma_f32 v3, -v0, v5, v3
	ds_write_b64 v22, v[1:2] offset:3136
	ds_write_b64 v6, v[3:4] offset:4704
.LBB0_29:
	s_or_b64 exec, exec, s[4:5]
	s_waitcnt lgkmcnt(0)
	s_barrier
	s_and_saveexec_b64 s[4:5], s[0:1]
	s_cbranch_execz .LBB0_32
; %bb.30:
	v_mul_lo_u32 v2, s3, v18
	v_mul_lo_u32 v3, s2, v19
	v_mad_u64_u32 v[0:1], s[0:1], s2, v18, 0
	v_mov_b32_e32 v6, s11
	v_lshl_add_u32 v8, v20, 3, 0
	v_add3_u32 v1, v1, v3, v2
	v_lshlrev_b64 v[0:1], 3, v[0:1]
	v_mov_b32_e32 v21, 0
	v_add_co_u32_e32 v0, vcc, s10, v0
	v_addc_co_u32_e32 v9, vcc, v6, v1, vcc
	v_lshlrev_b64 v[6:7], 3, v[16:17]
	ds_read2_b64 v[2:5], v8 offset1:196
	v_add_co_u32_e32 v1, vcc, v0, v6
	v_addc_co_u32_e32 v0, vcc, v9, v7, vcc
	v_lshlrev_b64 v[6:7], 3, v[20:21]
	s_movk_i32 s0, 0xc3
	v_add_co_u32_e32 v6, vcc, v1, v6
	v_addc_co_u32_e32 v7, vcc, v0, v7, vcc
	s_waitcnt lgkmcnt(0)
	global_store_dwordx2 v[6:7], v[2:3], off
	v_add_u32_e32 v2, 0xc4, v20
	v_mov_b32_e32 v3, v21
	v_lshlrev_b64 v[2:3], 3, v[2:3]
	v_add_u32_e32 v6, 0x188, v20
	v_add_co_u32_e32 v2, vcc, v1, v2
	v_addc_co_u32_e32 v3, vcc, v0, v3, vcc
	global_store_dwordx2 v[2:3], v[4:5], off
	v_add_u32_e32 v2, 0xc00, v8
	v_mov_b32_e32 v7, v21
	ds_read2_b64 v[2:5], v2 offset0:8 offset1:204
	v_lshlrev_b64 v[6:7], 3, v[6:7]
	v_add_co_u32_e32 v6, vcc, v1, v6
	v_addc_co_u32_e32 v7, vcc, v0, v7, vcc
	s_waitcnt lgkmcnt(0)
	global_store_dwordx2 v[6:7], v[2:3], off
	v_add_u32_e32 v2, 0x24c, v20
	v_mov_b32_e32 v3, v21
	v_lshlrev_b64 v[2:3], 3, v[2:3]
	v_add_co_u32_e32 v2, vcc, v1, v2
	v_addc_co_u32_e32 v3, vcc, v0, v3, vcc
	global_store_dwordx2 v[2:3], v[4:5], off
	v_add_u32_e32 v2, 0x310, v20
	v_mov_b32_e32 v3, v21
	ds_read_b64 v[4:5], v8 offset:6272
	v_lshlrev_b64 v[2:3], 3, v[2:3]
	v_add_co_u32_e32 v2, vcc, v1, v2
	v_addc_co_u32_e32 v3, vcc, v0, v3, vcc
	v_cmp_eq_u32_e32 vcc, s0, v20
	s_waitcnt lgkmcnt(0)
	global_store_dwordx2 v[2:3], v[4:5], off
	s_and_b64 exec, exec, vcc
	s_cbranch_execz .LBB0_32
; %bb.31:
	ds_read_b64 v[2:3], v21 offset:7840
	v_add_co_u32_e32 v4, vcc, 0x1000, v1
	v_addc_co_u32_e32 v5, vcc, 0, v0, vcc
	s_waitcnt lgkmcnt(0)
	global_store_dwordx2 v[4:5], v[2:3], off offset:3744
.LBB0_32:
	s_endpgm
	.section	.rodata,"a",@progbits
	.p2align	6, 0x0
	.amdhsa_kernel fft_rtc_fwd_len980_factors_7_5_7_4_wgs_196_tpt_196_sp_op_CI_CI_unitstride_sbrr_R2C_dirReg
		.amdhsa_group_segment_fixed_size 0
		.amdhsa_private_segment_fixed_size 0
		.amdhsa_kernarg_size 104
		.amdhsa_user_sgpr_count 6
		.amdhsa_user_sgpr_private_segment_buffer 1
		.amdhsa_user_sgpr_dispatch_ptr 0
		.amdhsa_user_sgpr_queue_ptr 0
		.amdhsa_user_sgpr_kernarg_segment_ptr 1
		.amdhsa_user_sgpr_dispatch_id 0
		.amdhsa_user_sgpr_flat_scratch_init 0
		.amdhsa_user_sgpr_private_segment_size 0
		.amdhsa_uses_dynamic_stack 0
		.amdhsa_system_sgpr_private_segment_wavefront_offset 0
		.amdhsa_system_sgpr_workgroup_id_x 1
		.amdhsa_system_sgpr_workgroup_id_y 0
		.amdhsa_system_sgpr_workgroup_id_z 0
		.amdhsa_system_sgpr_workgroup_info 0
		.amdhsa_system_vgpr_workitem_id 0
		.amdhsa_next_free_vgpr 35
		.amdhsa_next_free_sgpr 28
		.amdhsa_reserve_vcc 1
		.amdhsa_reserve_flat_scratch 0
		.amdhsa_float_round_mode_32 0
		.amdhsa_float_round_mode_16_64 0
		.amdhsa_float_denorm_mode_32 3
		.amdhsa_float_denorm_mode_16_64 3
		.amdhsa_dx10_clamp 1
		.amdhsa_ieee_mode 1
		.amdhsa_fp16_overflow 0
		.amdhsa_exception_fp_ieee_invalid_op 0
		.amdhsa_exception_fp_denorm_src 0
		.amdhsa_exception_fp_ieee_div_zero 0
		.amdhsa_exception_fp_ieee_overflow 0
		.amdhsa_exception_fp_ieee_underflow 0
		.amdhsa_exception_fp_ieee_inexact 0
		.amdhsa_exception_int_div_zero 0
	.end_amdhsa_kernel
	.text
.Lfunc_end0:
	.size	fft_rtc_fwd_len980_factors_7_5_7_4_wgs_196_tpt_196_sp_op_CI_CI_unitstride_sbrr_R2C_dirReg, .Lfunc_end0-fft_rtc_fwd_len980_factors_7_5_7_4_wgs_196_tpt_196_sp_op_CI_CI_unitstride_sbrr_R2C_dirReg
                                        ; -- End function
	.section	.AMDGPU.csdata,"",@progbits
; Kernel info:
; codeLenInByte = 4988
; NumSgprs: 32
; NumVgprs: 35
; ScratchSize: 0
; MemoryBound: 0
; FloatMode: 240
; IeeeMode: 1
; LDSByteSize: 0 bytes/workgroup (compile time only)
; SGPRBlocks: 3
; VGPRBlocks: 8
; NumSGPRsForWavesPerEU: 32
; NumVGPRsForWavesPerEU: 35
; Occupancy: 7
; WaveLimiterHint : 1
; COMPUTE_PGM_RSRC2:SCRATCH_EN: 0
; COMPUTE_PGM_RSRC2:USER_SGPR: 6
; COMPUTE_PGM_RSRC2:TRAP_HANDLER: 0
; COMPUTE_PGM_RSRC2:TGID_X_EN: 1
; COMPUTE_PGM_RSRC2:TGID_Y_EN: 0
; COMPUTE_PGM_RSRC2:TGID_Z_EN: 0
; COMPUTE_PGM_RSRC2:TIDIG_COMP_CNT: 0
	.type	__hip_cuid_90172c263e34ffc9,@object ; @__hip_cuid_90172c263e34ffc9
	.section	.bss,"aw",@nobits
	.globl	__hip_cuid_90172c263e34ffc9
__hip_cuid_90172c263e34ffc9:
	.byte	0                               ; 0x0
	.size	__hip_cuid_90172c263e34ffc9, 1

	.ident	"AMD clang version 19.0.0git (https://github.com/RadeonOpenCompute/llvm-project roc-6.4.0 25133 c7fe45cf4b819c5991fe208aaa96edf142730f1d)"
	.section	".note.GNU-stack","",@progbits
	.addrsig
	.addrsig_sym __hip_cuid_90172c263e34ffc9
	.amdgpu_metadata
---
amdhsa.kernels:
  - .args:
      - .actual_access:  read_only
        .address_space:  global
        .offset:         0
        .size:           8
        .value_kind:     global_buffer
      - .offset:         8
        .size:           8
        .value_kind:     by_value
      - .actual_access:  read_only
        .address_space:  global
        .offset:         16
        .size:           8
        .value_kind:     global_buffer
      - .actual_access:  read_only
        .address_space:  global
        .offset:         24
        .size:           8
        .value_kind:     global_buffer
      - .actual_access:  read_only
        .address_space:  global
        .offset:         32
        .size:           8
        .value_kind:     global_buffer
      - .offset:         40
        .size:           8
        .value_kind:     by_value
      - .actual_access:  read_only
        .address_space:  global
        .offset:         48
        .size:           8
        .value_kind:     global_buffer
      - .actual_access:  read_only
        .address_space:  global
        .offset:         56
        .size:           8
        .value_kind:     global_buffer
      - .offset:         64
        .size:           4
        .value_kind:     by_value
      - .actual_access:  read_only
        .address_space:  global
        .offset:         72
        .size:           8
        .value_kind:     global_buffer
      - .actual_access:  read_only
        .address_space:  global
        .offset:         80
        .size:           8
        .value_kind:     global_buffer
      - .actual_access:  read_only
        .address_space:  global
        .offset:         88
        .size:           8
        .value_kind:     global_buffer
      - .actual_access:  write_only
        .address_space:  global
        .offset:         96
        .size:           8
        .value_kind:     global_buffer
    .group_segment_fixed_size: 0
    .kernarg_segment_align: 8
    .kernarg_segment_size: 104
    .language:       OpenCL C
    .language_version:
      - 2
      - 0
    .max_flat_workgroup_size: 196
    .name:           fft_rtc_fwd_len980_factors_7_5_7_4_wgs_196_tpt_196_sp_op_CI_CI_unitstride_sbrr_R2C_dirReg
    .private_segment_fixed_size: 0
    .sgpr_count:     32
    .sgpr_spill_count: 0
    .symbol:         fft_rtc_fwd_len980_factors_7_5_7_4_wgs_196_tpt_196_sp_op_CI_CI_unitstride_sbrr_R2C_dirReg.kd
    .uniform_work_group_size: 1
    .uses_dynamic_stack: false
    .vgpr_count:     35
    .vgpr_spill_count: 0
    .wavefront_size: 64
amdhsa.target:   amdgcn-amd-amdhsa--gfx906
amdhsa.version:
  - 1
  - 2
...

	.end_amdgpu_metadata
